;; amdgpu-corpus repo=ROCm/rocFFT kind=compiled arch=gfx1030 opt=O3
	.text
	.amdgcn_target "amdgcn-amd-amdhsa--gfx1030"
	.amdhsa_code_object_version 6
	.protected	fft_rtc_back_len1600_factors_10_16_10_wgs_200_tpt_100_halfLds_half_ip_CI_unitstride_sbrr_C2R_dirReg ; -- Begin function fft_rtc_back_len1600_factors_10_16_10_wgs_200_tpt_100_halfLds_half_ip_CI_unitstride_sbrr_C2R_dirReg
	.globl	fft_rtc_back_len1600_factors_10_16_10_wgs_200_tpt_100_halfLds_half_ip_CI_unitstride_sbrr_C2R_dirReg
	.p2align	8
	.type	fft_rtc_back_len1600_factors_10_16_10_wgs_200_tpt_100_halfLds_half_ip_CI_unitstride_sbrr_C2R_dirReg,@function
fft_rtc_back_len1600_factors_10_16_10_wgs_200_tpt_100_halfLds_half_ip_CI_unitstride_sbrr_C2R_dirReg: ; @fft_rtc_back_len1600_factors_10_16_10_wgs_200_tpt_100_halfLds_half_ip_CI_unitstride_sbrr_C2R_dirReg
; %bb.0:
	s_clause 0x2
	s_load_dwordx4 s[8:11], s[4:5], 0x0
	s_load_dwordx2 s[2:3], s[4:5], 0x50
	s_load_dwordx2 s[12:13], s[4:5], 0x18
	v_mul_u32_u24_e32 v1, 0x290, v0
	v_mov_b32_e32 v3, 0
	v_lshrrev_b32_e32 v9, 16, v1
	v_mov_b32_e32 v1, 0
	v_mov_b32_e32 v6, v3
	v_mov_b32_e32 v2, 0
	v_lshl_add_u32 v5, s6, 1, v9
	s_waitcnt lgkmcnt(0)
	v_cmp_lt_u64_e64 s0, s[10:11], 2
	s_and_b32 vcc_lo, exec_lo, s0
	s_cbranch_vccnz .LBB0_8
; %bb.1:
	s_load_dwordx2 s[0:1], s[4:5], 0x10
	v_mov_b32_e32 v1, 0
	s_add_u32 s6, s12, 8
	v_mov_b32_e32 v2, 0
	s_addc_u32 s7, s13, 0
	s_mov_b64 s[16:17], 1
	s_waitcnt lgkmcnt(0)
	s_add_u32 s14, s0, 8
	s_addc_u32 s15, s1, 0
.LBB0_2:                                ; =>This Inner Loop Header: Depth=1
	s_load_dwordx2 s[18:19], s[14:15], 0x0
                                        ; implicit-def: $vgpr7_vgpr8
	s_mov_b32 s0, exec_lo
	s_waitcnt lgkmcnt(0)
	v_or_b32_e32 v4, s19, v6
	v_cmpx_ne_u64_e32 0, v[3:4]
	s_xor_b32 s1, exec_lo, s0
	s_cbranch_execz .LBB0_4
; %bb.3:                                ;   in Loop: Header=BB0_2 Depth=1
	v_cvt_f32_u32_e32 v4, s18
	v_cvt_f32_u32_e32 v7, s19
	s_sub_u32 s0, 0, s18
	s_subb_u32 s20, 0, s19
	v_fmac_f32_e32 v4, 0x4f800000, v7
	v_rcp_f32_e32 v4, v4
	v_mul_f32_e32 v4, 0x5f7ffffc, v4
	v_mul_f32_e32 v7, 0x2f800000, v4
	v_trunc_f32_e32 v7, v7
	v_fmac_f32_e32 v4, 0xcf800000, v7
	v_cvt_u32_f32_e32 v7, v7
	v_cvt_u32_f32_e32 v4, v4
	v_mul_lo_u32 v8, s0, v7
	v_mul_hi_u32 v10, s0, v4
	v_mul_lo_u32 v11, s20, v4
	v_add_nc_u32_e32 v8, v10, v8
	v_mul_lo_u32 v10, s0, v4
	v_add_nc_u32_e32 v8, v8, v11
	v_mul_hi_u32 v11, v4, v10
	v_mul_lo_u32 v12, v4, v8
	v_mul_hi_u32 v13, v4, v8
	v_mul_hi_u32 v14, v7, v10
	v_mul_lo_u32 v10, v7, v10
	v_mul_hi_u32 v15, v7, v8
	v_mul_lo_u32 v8, v7, v8
	v_add_co_u32 v11, vcc_lo, v11, v12
	v_add_co_ci_u32_e32 v12, vcc_lo, 0, v13, vcc_lo
	v_add_co_u32 v10, vcc_lo, v11, v10
	v_add_co_ci_u32_e32 v10, vcc_lo, v12, v14, vcc_lo
	v_add_co_ci_u32_e32 v11, vcc_lo, 0, v15, vcc_lo
	v_add_co_u32 v8, vcc_lo, v10, v8
	v_add_co_ci_u32_e32 v10, vcc_lo, 0, v11, vcc_lo
	v_add_co_u32 v4, vcc_lo, v4, v8
	v_add_co_ci_u32_e32 v7, vcc_lo, v7, v10, vcc_lo
	v_mul_hi_u32 v8, s0, v4
	v_mul_lo_u32 v11, s20, v4
	v_mul_lo_u32 v10, s0, v7
	v_add_nc_u32_e32 v8, v8, v10
	v_mul_lo_u32 v10, s0, v4
	v_add_nc_u32_e32 v8, v8, v11
	v_mul_hi_u32 v11, v4, v10
	v_mul_lo_u32 v12, v4, v8
	v_mul_hi_u32 v13, v4, v8
	v_mul_hi_u32 v14, v7, v10
	v_mul_lo_u32 v10, v7, v10
	v_mul_hi_u32 v15, v7, v8
	v_mul_lo_u32 v8, v7, v8
	v_add_co_u32 v11, vcc_lo, v11, v12
	v_add_co_ci_u32_e32 v12, vcc_lo, 0, v13, vcc_lo
	v_add_co_u32 v10, vcc_lo, v11, v10
	v_add_co_ci_u32_e32 v10, vcc_lo, v12, v14, vcc_lo
	v_add_co_ci_u32_e32 v11, vcc_lo, 0, v15, vcc_lo
	v_add_co_u32 v8, vcc_lo, v10, v8
	v_add_co_ci_u32_e32 v10, vcc_lo, 0, v11, vcc_lo
	v_add_co_u32 v4, vcc_lo, v4, v8
	v_add_co_ci_u32_e32 v12, vcc_lo, v7, v10, vcc_lo
	v_mul_hi_u32 v14, v5, v4
	v_mad_u64_u32 v[10:11], null, v6, v4, 0
	v_mad_u64_u32 v[7:8], null, v5, v12, 0
	;; [unrolled: 1-line block ×3, first 2 shown]
	v_add_co_u32 v4, vcc_lo, v14, v7
	v_add_co_ci_u32_e32 v7, vcc_lo, 0, v8, vcc_lo
	v_add_co_u32 v4, vcc_lo, v4, v10
	v_add_co_ci_u32_e32 v4, vcc_lo, v7, v11, vcc_lo
	v_add_co_ci_u32_e32 v7, vcc_lo, 0, v13, vcc_lo
	v_add_co_u32 v4, vcc_lo, v4, v12
	v_add_co_ci_u32_e32 v10, vcc_lo, 0, v7, vcc_lo
	v_mul_lo_u32 v11, s19, v4
	v_mad_u64_u32 v[7:8], null, s18, v4, 0
	v_mul_lo_u32 v12, s18, v10
	v_sub_co_u32 v7, vcc_lo, v5, v7
	v_add3_u32 v8, v8, v12, v11
	v_sub_nc_u32_e32 v11, v6, v8
	v_subrev_co_ci_u32_e64 v11, s0, s19, v11, vcc_lo
	v_add_co_u32 v12, s0, v4, 2
	v_add_co_ci_u32_e64 v13, s0, 0, v10, s0
	v_sub_co_u32 v14, s0, v7, s18
	v_sub_co_ci_u32_e32 v8, vcc_lo, v6, v8, vcc_lo
	v_subrev_co_ci_u32_e64 v11, s0, 0, v11, s0
	v_cmp_le_u32_e32 vcc_lo, s18, v14
	v_cmp_eq_u32_e64 s0, s19, v8
	v_cndmask_b32_e64 v14, 0, -1, vcc_lo
	v_cmp_le_u32_e32 vcc_lo, s19, v11
	v_cndmask_b32_e64 v15, 0, -1, vcc_lo
	v_cmp_le_u32_e32 vcc_lo, s18, v7
	;; [unrolled: 2-line block ×3, first 2 shown]
	v_cndmask_b32_e64 v16, 0, -1, vcc_lo
	v_cmp_eq_u32_e32 vcc_lo, s19, v11
	v_cndmask_b32_e64 v7, v16, v7, s0
	v_cndmask_b32_e32 v11, v15, v14, vcc_lo
	v_add_co_u32 v14, vcc_lo, v4, 1
	v_add_co_ci_u32_e32 v15, vcc_lo, 0, v10, vcc_lo
	v_cmp_ne_u32_e32 vcc_lo, 0, v11
	v_cndmask_b32_e32 v8, v15, v13, vcc_lo
	v_cndmask_b32_e32 v11, v14, v12, vcc_lo
	v_cmp_ne_u32_e32 vcc_lo, 0, v7
	v_cndmask_b32_e32 v8, v10, v8, vcc_lo
	v_cndmask_b32_e32 v7, v4, v11, vcc_lo
.LBB0_4:                                ;   in Loop: Header=BB0_2 Depth=1
	s_andn2_saveexec_b32 s0, s1
	s_cbranch_execz .LBB0_6
; %bb.5:                                ;   in Loop: Header=BB0_2 Depth=1
	v_cvt_f32_u32_e32 v4, s18
	s_sub_i32 s1, 0, s18
	v_rcp_iflag_f32_e32 v4, v4
	v_mul_f32_e32 v4, 0x4f7ffffe, v4
	v_cvt_u32_f32_e32 v4, v4
	v_mul_lo_u32 v7, s1, v4
	v_mul_hi_u32 v7, v4, v7
	v_add_nc_u32_e32 v4, v4, v7
	v_mul_hi_u32 v4, v5, v4
	v_mul_lo_u32 v7, v4, s18
	v_add_nc_u32_e32 v8, 1, v4
	v_sub_nc_u32_e32 v7, v5, v7
	v_subrev_nc_u32_e32 v10, s18, v7
	v_cmp_le_u32_e32 vcc_lo, s18, v7
	v_cndmask_b32_e32 v7, v7, v10, vcc_lo
	v_cndmask_b32_e32 v4, v4, v8, vcc_lo
	v_cmp_le_u32_e32 vcc_lo, s18, v7
	v_add_nc_u32_e32 v8, 1, v4
	v_cndmask_b32_e32 v7, v4, v8, vcc_lo
	v_mov_b32_e32 v8, v3
.LBB0_6:                                ;   in Loop: Header=BB0_2 Depth=1
	s_or_b32 exec_lo, exec_lo, s0
	s_load_dwordx2 s[0:1], s[6:7], 0x0
	v_mul_lo_u32 v4, v8, s18
	v_mul_lo_u32 v12, v7, s19
	v_mad_u64_u32 v[10:11], null, v7, s18, 0
	s_add_u32 s16, s16, 1
	s_addc_u32 s17, s17, 0
	s_add_u32 s6, s6, 8
	s_addc_u32 s7, s7, 0
	;; [unrolled: 2-line block ×3, first 2 shown]
	v_add3_u32 v4, v11, v12, v4
	v_sub_co_u32 v5, vcc_lo, v5, v10
	v_sub_co_ci_u32_e32 v4, vcc_lo, v6, v4, vcc_lo
	s_waitcnt lgkmcnt(0)
	v_mul_lo_u32 v6, s1, v5
	v_mul_lo_u32 v4, s0, v4
	v_mad_u64_u32 v[1:2], null, s0, v5, v[1:2]
	v_cmp_ge_u64_e64 s0, s[16:17], s[10:11]
	s_and_b32 vcc_lo, exec_lo, s0
	v_add3_u32 v2, v6, v2, v4
	s_cbranch_vccnz .LBB0_9
; %bb.7:                                ;   in Loop: Header=BB0_2 Depth=1
	v_mov_b32_e32 v5, v7
	v_mov_b32_e32 v6, v8
	s_branch .LBB0_2
.LBB0_8:
	v_mov_b32_e32 v8, v6
	v_mov_b32_e32 v7, v5
.LBB0_9:
	s_lshl_b64 s[0:1], s[10:11], 3
	v_and_b32_e32 v6, 1, v9
	s_add_u32 s0, s12, s0
	s_addc_u32 s1, s13, s1
	v_mul_hi_u32 v3, 0x28f5c29, v0
	s_load_dwordx2 s[0:1], s[0:1], 0x0
	s_load_dwordx2 s[4:5], s[4:5], 0x20
	v_cmp_eq_u32_e32 vcc_lo, 1, v6
	v_cndmask_b32_e64 v31, 0, 0x641, vcc_lo
	v_mul_u32_u24_e32 v3, 0x64, v3
	v_lshlrev_b32_e32 v28, 2, v31
	v_sub_nc_u32_e32 v0, v0, v3
	s_waitcnt lgkmcnt(0)
	v_mul_lo_u32 v4, s0, v8
	v_mul_lo_u32 v5, s1, v7
	v_mad_u64_u32 v[1:2], null, s0, v7, v[1:2]
	v_cmp_gt_u64_e32 vcc_lo, s[4:5], v[7:8]
	v_add3_u32 v2, v5, v2, v4
	v_lshlrev_b64 v[2:3], 2, v[1:2]
	s_and_saveexec_b32 s1, vcc_lo
	s_cbranch_execz .LBB0_13
; %bb.10:
	v_mov_b32_e32 v1, 0
	s_mov_b32 s4, exec_lo
	v_lshlrev_b64 v[5:6], 2, v[0:1]
	v_add_co_u32 v1, s0, s2, v2
	v_add_co_ci_u32_e64 v4, s0, s3, v3, s0
	v_add_co_u32 v5, s0, v1, v5
	v_add_co_ci_u32_e64 v6, s0, v4, v6, s0
	;; [unrolled: 2-line block ×4, first 2 shown]
	s_clause 0xf
	global_load_dword v11, v[5:6], off
	global_load_dword v12, v[5:6], off offset:400
	global_load_dword v13, v[5:6], off offset:800
	;; [unrolled: 1-line block ×15, first 2 shown]
	v_lshlrev_b32_e32 v5, 2, v0
	v_add3_u32 v5, 0, v28, v5
	v_add_nc_u32_e32 v10, 0x200, v5
	v_add_nc_u32_e32 v23, 0x400, v5
	;; [unrolled: 1-line block ×7, first 2 shown]
	s_waitcnt vmcnt(14)
	ds_write2_b32 v5, v11, v12 offset1:100
	s_waitcnt vmcnt(12)
	ds_write2_b32 v10, v13, v14 offset0:72 offset1:172
	s_waitcnt vmcnt(10)
	ds_write2_b32 v23, v15, v6 offset0:144 offset1:244
	;; [unrolled: 2-line block ×7, first 2 shown]
	v_cmpx_eq_u32_e32 0x63, v0
	s_cbranch_execz .LBB0_12
; %bb.11:
	v_add_co_u32 v0, s0, 0x1800, v1
	v_add_co_ci_u32_e64 v1, s0, 0, v4, s0
	global_load_dword v1, v[0:1], off offset:256
	v_mov_b32_e32 v0, 0x63
	s_waitcnt vmcnt(0)
	ds_write_b32 v5, v1 offset:6004
.LBB0_12:
	s_or_b32 exec_lo, exec_lo, s4
.LBB0_13:
	s_or_b32 exec_lo, exec_lo, s1
	v_lshl_add_u32 v26, v31, 2, 0
	v_lshlrev_b32_e32 v8, 2, v0
	s_waitcnt lgkmcnt(0)
	s_barrier
	buffer_gl0_inv
	s_add_u32 s1, s8, 0x18d8
	v_add_nc_u32_e32 v27, v26, v8
	v_sub_nc_u32_e32 v6, v26, v8
	s_addc_u32 s4, s9, 0
	s_mov_b32 s5, exec_lo
	ds_read_u16 v10, v27
	ds_read_u16 v11, v6 offset:6400
                                        ; implicit-def: $vgpr4_vgpr5
	s_waitcnt lgkmcnt(0)
	v_add_f16_e32 v9, v11, v10
	v_sub_f16_e32 v7, v10, v11
	v_cmpx_ne_u32_e32 0, v0
	s_xor_b32 s5, exec_lo, s5
	s_cbranch_execz .LBB0_15
; %bb.14:
	v_mov_b32_e32 v1, 0
	v_add_f16_e32 v9, v11, v10
	v_sub_f16_e32 v10, v10, v11
	v_lshlrev_b64 v[4:5], 2, v[0:1]
	v_add_co_u32 v4, s0, s1, v4
	v_add_co_ci_u32_e64 v5, s0, s4, v5, s0
	global_load_dword v4, v[4:5], off
	ds_read_u16 v5, v6 offset:6402
	ds_read_u16 v7, v27 offset:2
	s_waitcnt lgkmcnt(0)
	v_add_f16_e32 v11, v5, v7
	v_sub_f16_e32 v5, v7, v5
	s_waitcnt vmcnt(0)
	v_lshrrev_b32_e32 v12, 16, v4
	v_fma_f16 v13, -v10, v12, v9
	v_fma_f16 v14, v11, v12, -v5
	v_fma_f16 v7, v11, v12, v5
	v_fma_f16 v9, v10, v12, v9
	v_fmac_f16_e32 v13, v4, v11
	v_fmac_f16_e32 v14, v10, v4
	;; [unrolled: 1-line block ×3, first 2 shown]
	v_fma_f16 v9, -v4, v11, v9
	v_mov_b32_e32 v5, v1
	v_mov_b32_e32 v4, v0
	v_pack_b32_f16 v10, v13, v14
	ds_write_b32 v6, v10 offset:6400
.LBB0_15:
	s_andn2_saveexec_b32 s0, s5
	s_cbranch_execz .LBB0_17
; %bb.16:
	ds_read_b32 v1, v26 offset:3200
	v_mov_b32_e32 v4, 0
	v_mov_b32_e32 v5, 0
	s_waitcnt lgkmcnt(0)
	v_pk_mul_f16 v1, 0xc0004000, v1
	ds_write_b32 v26, v1 offset:3200
.LBB0_17:
	s_or_b32 exec_lo, exec_lo, s0
	v_lshlrev_b64 v[4:5], 2, v[4:5]
	v_add_co_u32 v4, s0, s1, v4
	v_add_co_ci_u32_e64 v5, s0, s4, v5, s0
	s_clause 0x4
	global_load_dword v1, v[4:5], off offset:400
	global_load_dword v10, v[4:5], off offset:800
	;; [unrolled: 1-line block ×5, first 2 shown]
	v_add_co_u32 v4, s0, 0x800, v4
	v_add_co_ci_u32_e64 v5, s0, 0, v5, s0
	v_cmp_gt_u32_e64 s0, 60, v0
	s_clause 0x1
	global_load_dword v14, v[4:5], off offset:352
	global_load_dword v15, v[4:5], off offset:752
	v_perm_b32 v4, v7, v9, 0x5040100
	ds_write_b32 v27, v4
	ds_read_b32 v4, v27 offset:400
	ds_read_b32 v5, v6 offset:6000
	s_waitcnt lgkmcnt(0)
	v_add_f16_e32 v7, v4, v5
	v_add_f16_sdwa v9, v5, v4 dst_sel:DWORD dst_unused:UNUSED_PAD src0_sel:WORD_1 src1_sel:WORD_1
	v_sub_f16_e32 v16, v4, v5
	v_sub_f16_sdwa v4, v4, v5 dst_sel:DWORD dst_unused:UNUSED_PAD src0_sel:WORD_1 src1_sel:WORD_1
	s_waitcnt vmcnt(6)
	v_lshrrev_b32_e32 v17, 16, v1
	v_fma_f16 v5, v16, v17, v7
	v_fma_f16 v18, v9, v17, v4
	v_fma_f16 v7, -v16, v17, v7
	v_fma_f16 v4, v9, v17, -v4
	v_fma_f16 v5, -v1, v9, v5
	v_fmac_f16_e32 v18, v16, v1
	v_fmac_f16_e32 v7, v1, v9
	;; [unrolled: 1-line block ×3, first 2 shown]
	v_pack_b32_f16 v1, v5, v18
	s_waitcnt vmcnt(5)
	v_lshrrev_b32_e32 v5, 16, v10
	v_pack_b32_f16 v4, v7, v4
	ds_write_b32 v27, v1 offset:400
	ds_write_b32 v6, v4 offset:6000
	ds_read_b32 v1, v27 offset:800
	ds_read_b32 v4, v6 offset:5600
	s_waitcnt lgkmcnt(0)
	v_add_f16_e32 v7, v1, v4
	v_add_f16_sdwa v9, v4, v1 dst_sel:DWORD dst_unused:UNUSED_PAD src0_sel:WORD_1 src1_sel:WORD_1
	v_sub_f16_e32 v16, v1, v4
	v_sub_f16_sdwa v1, v1, v4 dst_sel:DWORD dst_unused:UNUSED_PAD src0_sel:WORD_1 src1_sel:WORD_1
	v_fma_f16 v4, v16, v5, v7
	v_fma_f16 v17, v9, v5, v1
	v_fma_f16 v7, -v16, v5, v7
	v_fma_f16 v1, v9, v5, -v1
	s_waitcnt vmcnt(4)
	v_lshrrev_b32_e32 v5, 16, v11
	v_fma_f16 v4, -v10, v9, v4
	v_fmac_f16_e32 v17, v16, v10
	v_fmac_f16_e32 v7, v10, v9
	;; [unrolled: 1-line block ×3, first 2 shown]
	v_pack_b32_f16 v4, v4, v17
	v_pack_b32_f16 v1, v7, v1
	ds_write_b32 v27, v4 offset:800
	ds_write_b32 v6, v1 offset:5600
	ds_read_b32 v1, v27 offset:1200
	ds_read_b32 v4, v6 offset:5200
	s_waitcnt lgkmcnt(0)
	v_add_f16_e32 v7, v1, v4
	v_add_f16_sdwa v9, v4, v1 dst_sel:DWORD dst_unused:UNUSED_PAD src0_sel:WORD_1 src1_sel:WORD_1
	v_sub_f16_e32 v10, v1, v4
	v_sub_f16_sdwa v1, v1, v4 dst_sel:DWORD dst_unused:UNUSED_PAD src0_sel:WORD_1 src1_sel:WORD_1
	v_fma_f16 v4, v10, v5, v7
	v_fma_f16 v16, v9, v5, v1
	v_fma_f16 v7, -v10, v5, v7
	v_fma_f16 v1, v9, v5, -v1
	s_waitcnt vmcnt(3)
	v_lshrrev_b32_e32 v5, 16, v12
	v_fma_f16 v4, -v11, v9, v4
	v_fmac_f16_e32 v16, v10, v11
	v_fmac_f16_e32 v7, v11, v9
	;; [unrolled: 1-line block ×3, first 2 shown]
	v_pack_b32_f16 v4, v4, v16
	v_mul_u32_u24_e32 v16, 10, v0
	v_pack_b32_f16 v1, v7, v1
	ds_write_b32 v27, v4 offset:1200
	ds_write_b32 v6, v1 offset:5200
	ds_read_b32 v1, v27 offset:1600
	ds_read_b32 v4, v6 offset:4800
	v_lshl_add_u32 v37, v16, 2, 0
	v_add_nc_u32_e32 v48, v37, v28
	s_waitcnt lgkmcnt(0)
	v_add_f16_e32 v7, v1, v4
	v_add_f16_sdwa v9, v4, v1 dst_sel:DWORD dst_unused:UNUSED_PAD src0_sel:WORD_1 src1_sel:WORD_1
	v_sub_f16_e32 v10, v1, v4
	v_sub_f16_sdwa v1, v1, v4 dst_sel:DWORD dst_unused:UNUSED_PAD src0_sel:WORD_1 src1_sel:WORD_1
	v_fma_f16 v4, v10, v5, v7
	v_fma_f16 v11, v9, v5, v1
	v_fma_f16 v7, -v10, v5, v7
	v_fma_f16 v1, v9, v5, -v1
	s_waitcnt vmcnt(2)
	v_lshrrev_b32_e32 v5, 16, v13
	v_fma_f16 v4, -v12, v9, v4
	v_fmac_f16_e32 v11, v10, v12
	v_fmac_f16_e32 v7, v12, v9
	v_fmac_f16_e32 v1, v10, v12
	v_pack_b32_f16 v4, v4, v11
	v_pack_b32_f16 v1, v7, v1
	ds_write_b32 v27, v4 offset:1600
	ds_write_b32 v6, v1 offset:4800
	ds_read_b32 v1, v27 offset:2000
	ds_read_b32 v4, v6 offset:4400
	s_waitcnt lgkmcnt(0)
	v_add_f16_e32 v7, v1, v4
	v_add_f16_sdwa v9, v4, v1 dst_sel:DWORD dst_unused:UNUSED_PAD src0_sel:WORD_1 src1_sel:WORD_1
	v_sub_f16_e32 v10, v1, v4
	v_sub_f16_sdwa v1, v1, v4 dst_sel:DWORD dst_unused:UNUSED_PAD src0_sel:WORD_1 src1_sel:WORD_1
	v_fma_f16 v4, v10, v5, v7
	v_fma_f16 v11, v9, v5, v1
	v_fma_f16 v7, -v10, v5, v7
	v_fma_f16 v1, v9, v5, -v1
	s_waitcnt vmcnt(1)
	v_lshrrev_b32_e32 v5, 16, v14
	v_fma_f16 v4, -v13, v9, v4
	v_fmac_f16_e32 v11, v10, v13
	v_fmac_f16_e32 v7, v13, v9
	;; [unrolled: 1-line block ×3, first 2 shown]
	v_pack_b32_f16 v4, v4, v11
	v_pack_b32_f16 v1, v7, v1
	ds_write_b32 v27, v4 offset:2000
	ds_write_b32 v6, v1 offset:4400
	ds_read_b32 v1, v27 offset:2400
	ds_read_b32 v4, v6 offset:4000
	s_waitcnt lgkmcnt(0)
	v_add_f16_e32 v7, v1, v4
	v_add_f16_sdwa v9, v4, v1 dst_sel:DWORD dst_unused:UNUSED_PAD src0_sel:WORD_1 src1_sel:WORD_1
	v_sub_f16_e32 v10, v1, v4
	v_sub_f16_sdwa v1, v1, v4 dst_sel:DWORD dst_unused:UNUSED_PAD src0_sel:WORD_1 src1_sel:WORD_1
	v_fma_f16 v4, v10, v5, v7
	v_fma_f16 v11, v9, v5, v1
	v_fma_f16 v7, -v10, v5, v7
	v_fma_f16 v1, v9, v5, -v1
	v_fma_f16 v4, -v14, v9, v4
	v_fmac_f16_e32 v11, v10, v14
	v_fmac_f16_e32 v7, v14, v9
	;; [unrolled: 1-line block ×3, first 2 shown]
	v_pack_b32_f16 v4, v4, v11
	v_pack_b32_f16 v1, v7, v1
	ds_write_b32 v27, v4 offset:2400
	ds_write_b32 v6, v1 offset:4000
	ds_read_b32 v1, v27 offset:2800
	ds_read_b32 v4, v6 offset:3600
	s_waitcnt vmcnt(0)
	v_lshrrev_b32_e32 v7, 16, v15
	s_waitcnt lgkmcnt(0)
	v_add_f16_e32 v5, v1, v4
	v_add_f16_sdwa v9, v4, v1 dst_sel:DWORD dst_unused:UNUSED_PAD src0_sel:WORD_1 src1_sel:WORD_1
	v_sub_f16_e32 v10, v1, v4
	v_sub_f16_sdwa v1, v1, v4 dst_sel:DWORD dst_unused:UNUSED_PAD src0_sel:WORD_1 src1_sel:WORD_1
	v_fma_f16 v11, v10, v7, v5
	v_fma_f16 v4, v9, v7, v1
	v_fma_f16 v5, -v10, v7, v5
	v_fma_f16 v7, v9, v7, -v1
	v_add3_u32 v1, 0, v8, v28
	v_fma_f16 v8, -v15, v9, v11
	v_fmac_f16_e32 v4, v10, v15
	v_fmac_f16_e32 v5, v15, v9
	;; [unrolled: 1-line block ×3, first 2 shown]
	v_add_nc_u32_e32 v33, 0x400, v1
	v_add_nc_u32_e32 v36, 0xa00, v1
	v_pack_b32_f16 v4, v8, v4
	v_add_nc_u32_e32 v34, 0x1000, v1
	v_pack_b32_f16 v5, v5, v7
	ds_write_b32 v27, v4 offset:2800
	ds_write_b32 v6, v5 offset:3600
	v_add_nc_u32_e32 v4, 0x800, v1
	v_add_nc_u32_e32 v5, 0x1200, v1
	;; [unrolled: 1-line block ×4, first 2 shown]
	s_waitcnt lgkmcnt(0)
	s_barrier
	buffer_gl0_inv
	s_barrier
	buffer_gl0_inv
	ds_read2_b32 v[14:15], v33 offset0:164 offset1:224
	ds_read2_b32 v[12:13], v36 offset0:100 offset1:160
	;; [unrolled: 1-line block ×9, first 2 shown]
	ds_read_b32 v38, v1 offset:6160
	ds_read_b32 v4, v27
	s_waitcnt lgkmcnt(0)
	s_barrier
	buffer_gl0_inv
	v_sub_f16_e32 v30, v14, v12
	v_sub_f16_e32 v41, v12, v14
	;; [unrolled: 1-line block ×3, first 2 shown]
	v_add_f16_e32 v42, v14, v8
	v_sub_f16_e32 v40, v10, v8
	v_add_f16_sdwa v43, v12, v10 dst_sel:DWORD dst_unused:UNUSED_PAD src0_sel:WORD_1 src1_sel:WORD_1
	v_lshrrev_b32_e32 v39, 16, v20
	v_sub_f16_sdwa v44, v14, v12 dst_sel:DWORD dst_unused:UNUSED_PAD src0_sel:WORD_1 src1_sel:WORD_1
	v_sub_f16_sdwa v45, v8, v10 dst_sel:DWORD dst_unused:UNUSED_PAD src0_sel:WORD_1 src1_sel:WORD_1
	v_add_f16_sdwa v46, v14, v8 dst_sel:DWORD dst_unused:UNUSED_PAD src0_sel:WORD_1 src1_sel:WORD_1
	v_sub_f16_sdwa v47, v12, v14 dst_sel:DWORD dst_unused:UNUSED_PAD src0_sel:WORD_1 src1_sel:WORD_1
	v_sub_f16_sdwa v49, v10, v8 dst_sel:DWORD dst_unused:UNUSED_PAD src0_sel:WORD_1 src1_sel:WORD_1
	v_sub_f16_e32 v50, v38, v16
	v_sub_f16_e32 v51, v22, v18
	;; [unrolled: 1-line block ×4, first 2 shown]
	v_add_f16_sdwa v54, v18, v16 dst_sel:DWORD dst_unused:UNUSED_PAD src0_sel:WORD_1 src1_sel:WORD_1
	v_lshrrev_b32_e32 v55, 16, v24
	v_add_f16_sdwa v58, v22, v38 dst_sel:DWORD dst_unused:UNUSED_PAD src0_sel:WORD_1 src1_sel:WORD_1
	v_add_f16_e32 v5, v12, v10
	v_sub_f16_sdwa v7, v12, v10 dst_sel:DWORD dst_unused:UNUSED_PAD src0_sel:WORD_1 src1_sel:WORD_1
	v_sub_f16_sdwa v56, v22, v18 dst_sel:DWORD dst_unused:UNUSED_PAD src0_sel:WORD_1 src1_sel:WORD_1
	;; [unrolled: 1-line block ×5, first 2 shown]
	v_sub_f16_e32 v61, v17, v19
	v_sub_f16_e32 v62, v25, v23
	v_sub_f16_e32 v63, v19, v17
	v_sub_f16_e32 v64, v23, v25
	v_sub_f16_sdwa v67, v25, v23 dst_sel:DWORD dst_unused:UNUSED_PAD src0_sel:WORD_1 src1_sel:WORD_1
	v_sub_f16_sdwa v68, v17, v19 dst_sel:DWORD dst_unused:UNUSED_PAD src0_sel:WORD_1 src1_sel:WORD_1
	v_add_f16_sdwa v69, v25, v17 dst_sel:DWORD dst_unused:UNUSED_PAD src0_sel:WORD_1 src1_sel:WORD_1
	v_sub_f16_sdwa v70, v23, v25 dst_sel:DWORD dst_unused:UNUSED_PAD src0_sel:WORD_1 src1_sel:WORD_1
	v_sub_f16_e32 v72, v9, v11
	v_sub_f16_e32 v73, v15, v13
	;; [unrolled: 1-line block ×3, first 2 shown]
	v_add_f16_sdwa v76, v13, v11 dst_sel:DWORD dst_unused:UNUSED_PAD src0_sel:WORD_1 src1_sel:WORD_1
	v_lshrrev_b32_e32 v77, 16, v21
	v_sub_f16_sdwa v78, v15, v13 dst_sel:DWORD dst_unused:UNUSED_PAD src0_sel:WORD_1 src1_sel:WORD_1
	v_add_f16_sdwa v80, v15, v9 dst_sel:DWORD dst_unused:UNUSED_PAD src0_sel:WORD_1 src1_sel:WORD_1
	v_sub_f16_sdwa v81, v13, v15 dst_sel:DWORD dst_unused:UNUSED_PAD src0_sel:WORD_1 src1_sel:WORD_1
	v_add_f16_e32 v92, v25, v17
	v_sub_f16_sdwa v93, v25, v17 dst_sel:DWORD dst_unused:UNUSED_PAD src0_sel:WORD_1 src1_sel:WORD_1
	v_add_f16_e32 v29, v30, v29
	v_sub_f16_e32 v30, v25, v17
	v_add_f16_e32 v95, v41, v40
	v_add_f16_e32 v44, v44, v45
	;; [unrolled: 1-line block ×3, first 2 shown]
	v_fma_f16 v40, -0.5, v43, v39
	v_fmac_f16_e32 v39, -0.5, v46
	v_add_f16_e32 v43, v15, v9
	v_add_f16_e32 v46, v47, v49
	v_sub_f16_sdwa v47, v15, v9 dst_sel:DWORD dst_unused:UNUSED_PAD src0_sel:WORD_1 src1_sel:WORD_1
	v_add_f16_e32 v49, v51, v50
	v_add_f16_e32 v51, v53, v52
	v_sub_f16_e32 v52, v15, v9
	v_fma_f16 v54, -0.5, v54, v55
	v_fmac_f16_e32 v55, -0.5, v58
	v_pk_add_f16 v25, v4, v25
	v_pk_add_f16 v58, v21, v15
	v_fma_f16 v15, -0.5, v42, v20
	v_sub_f16_sdwa v6, v14, v8 dst_sel:DWORD dst_unused:UNUSED_PAD src0_sel:WORD_1 src1_sel:WORD_1
	v_add_f16_sdwa v65, v23, v19 dst_sel:DWORD dst_unused:UNUSED_PAD src0_sel:WORD_1 src1_sel:WORD_1
	v_lshrrev_b32_e32 v66, 16, v4
	v_sub_f16_sdwa v82, v11, v9 dst_sel:DWORD dst_unused:UNUSED_PAD src0_sel:WORD_1 src1_sel:WORD_1
	v_add_f16_e32 v85, v18, v16
	v_add_f16_e32 v91, v23, v19
	v_sub_f16_sdwa v94, v23, v19 dst_sel:DWORD dst_unused:UNUSED_PAD src0_sel:WORD_1 src1_sel:WORD_1
	v_sub_f16_e32 v96, v23, v19
	v_sub_f16_sdwa v50, v13, v11 dst_sel:DWORD dst_unused:UNUSED_PAD src0_sel:WORD_1 src1_sel:WORD_1
	v_add_f16_e32 v53, v56, v57
	v_sub_f16_e32 v56, v13, v11
	v_add_f16_e32 v57, v59, v60
	v_add_f16_e32 v59, v62, v61
	v_add_f16_e32 v60, v64, v63
	v_add_f16_e32 v61, v67, v68
	v_add_f16_e32 v64, v73, v72
	v_fma_f16 v41, -0.5, v5, v20
	v_fma_f16 v67, -0.5, v76, v77
	;; [unrolled: 1-line block ×3, first 2 shown]
	v_pk_add_f16 v23, v25, v23
	v_pk_add_f16 v25, v58, v13
	v_fmamk_f16 v13, v7, 0x3b9c, v15
	v_fmac_f16_e32 v15, 0xbb9c, v7
	v_sub_f16_sdwa v71, v19, v17 dst_sel:DWORD dst_unused:UNUSED_PAD src0_sel:WORD_1 src1_sel:WORD_1
	v_add_f16_e32 v86, v22, v38
	v_fmac_f16_e32 v77, -0.5, v80
	v_sub_f16_e32 v74, v11, v9
	v_sub_f16_sdwa v79, v9, v11 dst_sel:DWORD dst_unused:UNUSED_PAD src0_sel:WORD_1 src1_sel:WORD_1
	v_sub_f16_sdwa v87, v22, v38 dst_sel:DWORD dst_unused:UNUSED_PAD src0_sel:WORD_1 src1_sel:WORD_1
	v_sub_f16_e32 v89, v22, v38
	v_sub_f16_e32 v90, v18, v16
	v_fma_f16 v62, -0.5, v65, v66
	v_fmac_f16_e32 v66, -0.5, v69
	v_add_f16_e32 v68, v81, v82
	v_fma_f16 v69, -0.5, v85, v24
	v_fma_f16 v73, -0.5, v43, v21
	v_fmamk_f16 v21, v6, 0xbb9c, v41
	v_fmac_f16_e32 v41, 0x3b9c, v6
	v_fmac_f16_e32 v13, 0xb8b4, v6
	;; [unrolled: 1-line block ×3, first 2 shown]
	v_fmamk_f16 v6, v47, 0xbb9c, v72
	v_fmamk_f16 v81, v52, 0x3b9c, v67
	v_sub_f16_sdwa v88, v18, v16 dst_sel:DWORD dst_unused:UNUSED_PAD src0_sel:WORD_1 src1_sel:WORD_1
	v_add_f16_e32 v63, v70, v71
	v_fma_f16 v70, -0.5, v86, v24
	v_fmamk_f16 v82, v56, 0xbb9c, v77
	v_fmac_f16_e32 v77, 0x3b9c, v56
	v_fmac_f16_e32 v67, 0xbb9c, v52
	v_sub_f16_e32 v83, v14, v8
	v_sub_f16_e32 v84, v12, v10
	v_add_f16_e32 v65, v75, v74
	v_add_f16_e32 v5, v78, v79
	v_fma_f16 v71, -0.5, v91, v4
	v_fmamk_f16 v58, v87, 0xbb9c, v69
	v_fmamk_f16 v75, v89, 0x3b9c, v54
	v_fmac_f16_e32 v54, 0xbb9c, v89
	v_fmamk_f16 v45, v90, 0xbb9c, v55
	v_fmac_f16_e32 v55, 0x3b9c, v90
	v_fmac_f16_e32 v6, 0xb8b4, v50
	;; [unrolled: 1-line block ×3, first 2 shown]
	v_fma_f16 v4, -0.5, v92, v4
	v_fmamk_f16 v74, v88, 0x3b9c, v70
	v_fmac_f16_e32 v70, 0xbb9c, v88
	v_fmamk_f16 v80, v50, 0x3b9c, v73
	v_fmac_f16_e32 v73, 0xbb9c, v50
	v_fmac_f16_e32 v82, 0x38b4, v52
	;; [unrolled: 1-line block ×5, first 2 shown]
	v_fmamk_f16 v42, v83, 0x3b9c, v40
	v_fmac_f16_e32 v40, 0xbb9c, v83
	v_fmamk_f16 v43, v84, 0xbb9c, v39
	v_fmac_f16_e32 v39, 0x3b9c, v84
	v_fmac_f16_e32 v69, 0x3b9c, v87
	v_fmamk_f16 v76, v93, 0xbb9c, v71
	v_fmamk_f16 v79, v30, 0x3b9c, v62
	v_fmac_f16_e32 v58, 0xb8b4, v88
	v_pk_add_f16 v19, v23, v19
	v_pk_add_f16 v11, v25, v11
	v_fmac_f16_e32 v75, 0x38b4, v90
	v_fmac_f16_e32 v54, 0xb8b4, v90
	v_fmac_f16_e32 v45, 0x38b4, v89
	v_fmac_f16_e32 v55, 0xb8b4, v89
	v_fmac_f16_e32 v6, 0x34f2, v64
	v_fmac_f16_e32 v81, 0x34f2, v5
	v_fmamk_f16 v78, v94, 0x3b9c, v4
	v_fmac_f16_e32 v4, 0xbb9c, v94
	v_fmac_f16_e32 v21, 0xb8b4, v7
	;; [unrolled: 1-line block ×3, first 2 shown]
	v_fmamk_f16 v7, v96, 0xbb9c, v66
	v_fmac_f16_e32 v66, 0x3b9c, v96
	v_fmac_f16_e32 v74, 0xb8b4, v87
	;; [unrolled: 1-line block ×18, first 2 shown]
	v_pk_add_f16 v17, v19, v17
	v_pk_add_f16 v9, v11, v9
	v_fmac_f16_e32 v58, 0x34f2, v49
	v_fmac_f16_e32 v75, 0x34f2, v53
	;; [unrolled: 1-line block ×5, first 2 shown]
	v_mul_f16_e32 v5, 0xb8b4, v81
	v_mul_f16_e32 v23, 0x38b4, v6
	v_fmac_f16_e32 v78, 0xb8b4, v93
	v_fmac_f16_e32 v4, 0x38b4, v93
	;; [unrolled: 1-line block ×10, first 2 shown]
	v_mul_f16_e32 v25, 0xbb9c, v82
	v_mul_f16_e32 v29, 0x34f2, v82
	;; [unrolled: 1-line block ×4, first 2 shown]
	v_fmac_f16_e32 v71, 0x38b4, v94
	v_fmac_f16_e32 v62, 0xb8b4, v96
	;; [unrolled: 1-line block ×3, first 2 shown]
	v_mul_f16_e32 v52, 0xb8b4, v67
	v_mul_f16_e32 v53, 0xba79, v67
	v_fmac_f16_e32 v42, 0x34f2, v44
	v_fmac_f16_e32 v40, 0x34f2, v44
	;; [unrolled: 1-line block ×7, first 2 shown]
	v_pk_add_f16 v49, v17, v9
	v_pk_add_f16 v50, v17, v9 neg_lo:[0,1] neg_hi:[0,1]
	v_mul_f16_e32 v11, 0xb8b4, v75
	v_mul_f16_e32 v19, 0x38b4, v58
	;; [unrolled: 1-line block ×8, first 2 shown]
	v_fmac_f16_e32 v5, 0x3a79, v6
	v_fmac_f16_e32 v23, 0x3a79, v81
	;; [unrolled: 1-line block ×24, first 2 shown]
	v_add_f16_e32 v54, v76, v5
	v_add_f16_e32 v61, v79, v23
	;; [unrolled: 1-line block ×7, first 2 shown]
	v_sub_f16_e32 v51, v66, v51
	v_add_f16_e32 v66, v62, v53
	v_sub_f16_e32 v55, v76, v5
	v_sub_f16_e32 v57, v78, v25
	;; [unrolled: 1-line block ×15, first 2 shown]
	v_pack_b32_f16 v54, v54, v61
	v_pack_b32_f16 v58, v58, v67
	;; [unrolled: 1-line block ×8, first 2 shown]
	ds_write2_b32 v48, v49, v54 offset1:1
	ds_write2_b32 v48, v56, v58 offset0:2 offset1:3
	ds_write2_b32 v48, v60, v50 offset0:4 offset1:5
	;; [unrolled: 1-line block ×4, first 2 shown]
	s_and_saveexec_b32 s1, s0
	s_cbranch_execz .LBB0_19
; %bb.18:
	v_pk_add_f16 v14, v20, v14
	v_pk_add_f16 v20, v24, v22
	v_add_f16_e32 v19, v42, v19
	v_add_f16_e32 v11, v21, v11
	;; [unrolled: 1-line block ×3, first 2 shown]
	v_pk_add_f16 v12, v14, v12
	v_pk_add_f16 v14, v20, v18
	v_add_f16_e32 v18, v43, v44
	v_add_f16_e32 v9, v13, v9
	v_add_f16_e32 v22, v40, v47
	v_pk_add_f16 v10, v12, v10
	v_pk_add_f16 v12, v14, v16
	v_add_f16_e32 v14, v15, v17
	v_lshl_add_u32 v15, v31, 2, v37
	v_add_f16_e32 v20, v41, v45
	v_pk_add_f16 v8, v10, v8
	v_pk_add_f16 v10, v12, v38
	v_pack_b32_f16 v11, v11, v19
	v_add_nc_u32_e32 v12, 0xfa0, v15
	v_add_nc_u32_e32 v13, 0xfa8, v15
	v_pack_b32_f16 v14, v14, v24
	v_pk_add_f16 v16, v8, v10
	v_pack_b32_f16 v9, v9, v18
	v_add_nc_u32_e32 v17, 0xfb0, v15
	v_pk_add_f16 v8, v8, v10 neg_lo:[0,1] neg_hi:[0,1]
	v_pack_b32_f16 v10, v20, v22
	v_add_nc_u32_e32 v18, 0xfb8, v15
	v_perm_b32 v19, v23, v5, 0x5040100
	v_perm_b32 v20, v25, v4, 0x5040100
	v_add_nc_u32_e32 v15, 0xfc0, v15
	v_perm_b32 v21, v29, v7, 0x5040100
	v_perm_b32 v22, v30, v6, 0x5040100
	ds_write2_b32 v12, v16, v11 offset1:1
	ds_write2_b32 v13, v9, v14 offset1:1
	;; [unrolled: 1-line block ×5, first 2 shown]
.LBB0_19:
	s_or_b32 exec_lo, exec_lo, s1
	v_and_b32_e32 v8, 0xff, v0
	v_mov_b32_e32 v9, 15
	s_waitcnt lgkmcnt(0)
	s_barrier
	buffer_gl0_inv
	v_mul_lo_u16 v8, 0xcd, v8
	v_mov_b32_e32 v50, 0xa0
	v_add_nc_u32_e32 v51, 0x200, v1
	v_add_nc_u32_e32 v52, 0x700, v1
	;; [unrolled: 1-line block ×3, first 2 shown]
	v_lshrrev_b16 v24, 11, v8
	v_mul_lo_u16 v8, v24, 10
	v_mul_u32_u24_sdwa v24, v24, v50 dst_sel:DWORD dst_unused:UNUSED_PAD src0_sel:WORD_0 src1_sel:DWORD
	v_sub_nc_u16 v31, v0, v8
	v_mul_u32_u24_sdwa v8, v31, v9 dst_sel:DWORD dst_unused:UNUSED_PAD src0_sel:BYTE_0 src1_sel:DWORD
	v_or_b32_sdwa v24, v24, v31 dst_sel:DWORD dst_unused:UNUSED_PAD src0_sel:DWORD src1_sel:BYTE_0
	v_lshlrev_b32_e32 v20, 2, v8
	v_lshlrev_b32_e32 v24, 2, v24
	s_clause 0x3
	global_load_dwordx4 v[8:11], v20, s[8:9]
	global_load_dwordx4 v[12:15], v20, s[8:9] offset:16
	global_load_dwordx4 v[16:19], v20, s[8:9] offset:32
	global_load_dwordx3 v[20:22], v20, s[8:9] offset:48
	ds_read2_b32 v[37:38], v33 offset0:44 offset1:144
	ds_read2_b32 v[39:40], v36 offset0:60 offset1:160
	;; [unrolled: 1-line block ×6, first 2 shown]
	ds_read_b32 v36, v1 offset:6000
	v_add_nc_u32_e32 v35, 0x600, v1
	ds_read_b32 v49, v27
	v_add3_u32 v68, 0, v24, v28
	ds_read2_b32 v[47:48], v35 offset0:116 offset1:216
	s_waitcnt vmcnt(0) lgkmcnt(0)
	s_barrier
	buffer_gl0_inv
	v_lshrrev_b32_e32 v50, 16, v38
	v_lshrrev_b32_e32 v54, 16, v39
	;; [unrolled: 1-line block ×16, first 2 shown]
	v_mul_f16_sdwa v24, v8, v63 dst_sel:DWORD dst_unused:UNUSED_PAD src0_sel:WORD_1 src1_sel:DWORD
	v_mul_f16_sdwa v28, v8, v45 dst_sel:DWORD dst_unused:UNUSED_PAD src0_sel:WORD_1 src1_sel:DWORD
	;; [unrolled: 1-line block ×6, first 2 shown]
	v_mul_f16_sdwa v73, v50, v11 dst_sel:DWORD dst_unused:UNUSED_PAD src0_sel:DWORD src1_sel:WORD_1
	v_mul_f16_sdwa v74, v38, v11 dst_sel:DWORD dst_unused:UNUSED_PAD src0_sel:DWORD src1_sel:WORD_1
	;; [unrolled: 1-line block ×24, first 2 shown]
	v_fmac_f16_e32 v24, v8, v45
	v_fmac_f16_e32 v69, v9, v46
	v_fma_f16 v8, v8, v63, -v28
	v_fma_f16 v9, v9, v31, -v70
	v_fmac_f16_e32 v71, v10, v37
	v_fma_f16 v10, v10, v64, -v72
	v_fmac_f16_e32 v73, v38, v11
	;; [unrolled: 2-line block ×13, first 2 shown]
	v_fma_f16 v22, v62, v22, -v96
	v_sub_f16_e32 v28, v49, v81
	v_sub_f16_e32 v15, v65, v15
	v_sub_f16_e32 v31, v73, v89
	v_sub_f16_e32 v19, v11, v19
	v_sub_f16_e32 v33, v69, v85
	v_sub_f16_e32 v17, v9, v17
	v_sub_f16_e32 v34, v77, v93
	v_sub_f16_e32 v21, v13, v21
	v_sub_f16_e32 v36, v24, v83
	v_sub_f16_e32 v16, v8, v16
	v_sub_f16_e32 v37, v75, v91
	v_sub_f16_e32 v20, v12, v20
	v_sub_f16_e32 v38, v71, v87
	v_sub_f16_e32 v18, v10, v18
	v_sub_f16_e32 v39, v79, v95
	v_sub_f16_e32 v22, v14, v22
	v_fma_f16 v42, v73, 2.0, -v31
	v_fma_f16 v11, v11, 2.0, -v19
	v_fma_f16 v44, v77, 2.0, -v34
	v_fma_f16 v13, v13, 2.0, -v21
	v_fma_f16 v24, v24, 2.0, -v36
	v_fma_f16 v45, v75, 2.0, -v37
	v_fma_f16 v12, v12, 2.0, -v20
	v_fma_f16 v46, v71, 2.0, -v38
	v_fma_f16 v47, v79, 2.0, -v39
	v_fma_f16 v14, v14, 2.0, -v22
	v_add_f16_e32 v19, v28, v19
	v_sub_f16_e32 v31, v15, v31
	v_add_f16_e32 v21, v33, v21
	v_sub_f16_e32 v34, v17, v34
	;; [unrolled: 2-line block ×4, first 2 shown]
	v_fma_f16 v40, v49, 2.0, -v28
	v_fma_f16 v41, v65, 2.0, -v15
	;; [unrolled: 1-line block ×10, first 2 shown]
	v_sub_f16_e32 v45, v24, v45
	v_fma_f16 v36, v36, 2.0, -v20
	v_fma_f16 v16, v16, 2.0, -v37
	v_sub_f16_e32 v47, v46, v47
	v_fma_f16 v38, v38, 2.0, -v22
	v_fma_f16 v18, v18, 2.0, -v39
	v_fmamk_f16 v49, v34, 0x39a8, v31
	v_sub_f16_e32 v42, v40, v42
	v_sub_f16_e32 v11, v41, v11
	v_sub_f16_e32 v44, v43, v44
	v_sub_f16_e32 v13, v9, v13
	v_sub_f16_e32 v12, v8, v12
	v_sub_f16_e32 v14, v10, v14
	v_fmamk_f16 v48, v21, 0x39a8, v19
	v_fmamk_f16 v50, v22, 0x39a8, v20
	;; [unrolled: 1-line block ×3, first 2 shown]
	v_fma_f16 v55, v24, 2.0, -v45
	v_fma_f16 v24, v46, 2.0, -v47
	v_fmamk_f16 v46, v33, 0xb9a8, v28
	v_fmamk_f16 v56, v17, 0xb9a8, v15
	v_fmac_f16_e32 v49, 0xb9a8, v21
	v_fmamk_f16 v21, v38, 0xb9a8, v36
	v_fmamk_f16 v58, v18, 0xb9a8, v16
	v_fma_f16 v43, v43, 2.0, -v44
	v_fma_f16 v8, v8, 2.0, -v12
	;; [unrolled: 1-line block ×3, first 2 shown]
	v_add_f16_e32 v57, v42, v13
	v_sub_f16_e32 v44, v11, v44
	v_fmac_f16_e32 v48, 0x39a8, v34
	v_add_f16_e32 v14, v45, v14
	v_sub_f16_e32 v47, v12, v47
	v_fmac_f16_e32 v50, 0x39a8, v39
	v_fmac_f16_e32 v54, 0xb9a8, v22
	v_fma_f16 v40, v40, 2.0, -v42
	v_fma_f16 v41, v41, 2.0, -v11
	;; [unrolled: 1-line block ×3, first 2 shown]
	v_fmac_f16_e32 v46, 0x39a8, v17
	v_fmac_f16_e32 v56, 0xb9a8, v33
	;; [unrolled: 1-line block ×4, first 2 shown]
	v_fma_f16 v17, v42, 2.0, -v57
	v_fma_f16 v42, v11, 2.0, -v44
	;; [unrolled: 1-line block ×4, first 2 shown]
	v_sub_f16_e32 v10, v8, v10
	v_fma_f16 v18, v45, 2.0, -v14
	v_fma_f16 v38, v12, 2.0, -v47
	v_fma_f16 v20, v20, 2.0, -v50
	v_fma_f16 v37, v37, 2.0, -v54
	v_sub_f16_e32 v39, v40, v43
	v_sub_f16_e32 v43, v41, v9
	;; [unrolled: 1-line block ×3, first 2 shown]
	v_fmamk_f16 v12, v14, 0x39a8, v57
	v_fmamk_f16 v31, v47, 0x39a8, v44
	;; [unrolled: 1-line block ×4, first 2 shown]
	v_fma_f16 v45, v28, 2.0, -v46
	v_fma_f16 v15, v15, 2.0, -v56
	;; [unrolled: 1-line block ×5, first 2 shown]
	v_fmamk_f16 v8, v18, 0xb9a8, v17
	v_fmamk_f16 v22, v38, 0xb9a8, v42
	;; [unrolled: 1-line block ×4, first 2 shown]
	v_fma_f16 v55, v55, 2.0, -v11
	v_sub_f16_e32 v34, v43, v11
	v_fmamk_f16 v11, v21, 0x361f, v46
	v_fmamk_f16 v33, v58, 0x361f, v56
	v_add_f16_e32 v10, v39, v10
	v_fmac_f16_e32 v12, 0x39a8, v47
	v_fmac_f16_e32 v31, 0xb9a8, v14
	;; [unrolled: 1-line block ×4, first 2 shown]
	v_fma_f16 v40, v40, 2.0, -v39
	v_fma_f16 v41, v41, 2.0, -v43
	v_fmamk_f16 v50, v36, 0xbb64, v45
	v_fmamk_f16 v54, v16, 0xbb64, v15
	v_fmac_f16_e32 v8, 0x39a8, v38
	v_fmac_f16_e32 v22, 0xb9a8, v18
	v_fmac_f16_e32 v9, 0x3b64, v37
	v_fmac_f16_e32 v28, 0xbb64, v20
	v_fmac_f16_e32 v11, 0x3b64, v58
	v_fmac_f16_e32 v33, 0xbb64, v21
	v_fma_f16 v18, v39, 2.0, -v10
	v_fma_f16 v20, v43, 2.0, -v34
	;; [unrolled: 1-line block ×6, first 2 shown]
	v_sub_f16_e32 v14, v40, v55
	v_sub_f16_e32 v47, v41, v60
	v_pack_b32_f16 v44, v12, v31
	v_pack_b32_f16 v48, v13, v24
	v_fmac_f16_e32 v50, 0x361f, v16
	v_fmac_f16_e32 v54, 0xb61f, v36
	v_fma_f16 v16, v17, 2.0, -v8
	v_fma_f16 v17, v42, 2.0, -v22
	;; [unrolled: 1-line block ×6, first 2 shown]
	v_pack_b32_f16 v18, v18, v20
	v_pack_b32_f16 v20, v21, v37
	;; [unrolled: 1-line block ×3, first 2 shown]
	v_fma_f16 v40, v40, 2.0, -v14
	v_fma_f16 v41, v41, 2.0, -v47
	ds_write2_b32 v68, v44, v48 offset0:140 offset1:150
	v_fma_f16 v44, v45, 2.0, -v50
	v_fma_f16 v15, v15, 2.0, -v54
	v_pack_b32_f16 v43, v10, v34
	v_pack_b32_f16 v37, v8, v22
	;; [unrolled: 1-line block ×8, first 2 shown]
	ds_write2_b32 v68, v20, v21 offset0:60 offset1:70
	v_pack_b32_f16 v20, v50, v54
	v_pack_b32_f16 v40, v40, v41
	;; [unrolled: 1-line block ×3, first 2 shown]
	ds_write2_b32 v68, v37, v38 offset0:100 offset1:110
	ds_write2_b32 v68, v43, v39 offset0:120 offset1:130
	;; [unrolled: 1-line block ×5, first 2 shown]
	ds_write2_b32 v68, v40, v15 offset1:10
	s_waitcnt lgkmcnt(0)
	s_barrier
	buffer_gl0_inv
	ds_read2_b32 v[20:21], v51 offset0:32 offset1:192
	ds_read2_b32 v[18:19], v52 offset0:32 offset1:192
	;; [unrolled: 1-line block ×4, first 2 shown]
	ds_read_b32 v27, v27
	ds_read_b32 v32, v1 offset:5760
	s_and_saveexec_b32 s1, s0
	s_cbranch_execz .LBB0_21
; %bb.20:
	v_add_nc_u32_e32 v4, 0x100, v1
	v_add_nc_u32_e32 v5, 0xb00, v1
	;; [unrolled: 1-line block ×4, first 2 shown]
	ds_read2_b32 v[10:11], v35 offset0:36 offset1:196
	ds_read2_b32 v[8:9], v4 offset0:36 offset1:196
	;; [unrolled: 1-line block ×5, first 2 shown]
	s_waitcnt lgkmcnt(4)
	v_lshrrev_b32_e32 v34, 16, v10
	v_lshrrev_b32_e32 v33, 16, v11
	s_waitcnt lgkmcnt(3)
	v_lshrrev_b32_e32 v22, 16, v8
	v_lshrrev_b32_e32 v28, 16, v9
	;; [unrolled: 3-line block ×5, first 2 shown]
.LBB0_21:
	s_or_b32 exec_lo, exec_lo, s1
	v_mul_u32_u24_e32 v35, 9, v0
	s_waitcnt lgkmcnt(2)
	v_lshrrev_b32_e32 v46, 16, v15
	v_lshrrev_b32_e32 v47, 16, v14
	;; [unrolled: 1-line block ×4, first 2 shown]
	v_lshlrev_b32_e32 v43, 2, v35
	v_lshrrev_b32_e32 v50, 16, v19
	v_lshrrev_b32_e32 v51, 16, v18
	;; [unrolled: 1-line block ×4, first 2 shown]
	s_clause 0x2
	global_load_dwordx4 v[35:38], v43, s[8:9] offset:600
	global_load_dwordx4 v[39:42], v43, s[8:9] offset:616
	global_load_dword v43, v43, s[8:9] offset:632
	s_waitcnt lgkmcnt(0)
	v_lshrrev_b32_e32 v45, 16, v32
	v_lshrrev_b32_e32 v44, 16, v27
	v_add_nc_u32_e32 v54, 0x400, v1
	v_add_nc_u32_e32 v55, 0xa00, v1
	;; [unrolled: 1-line block ×4, first 2 shown]
	s_waitcnt vmcnt(0)
	s_barrier
	buffer_gl0_inv
	v_mul_f16_sdwa v58, v35, v53 dst_sel:DWORD dst_unused:UNUSED_PAD src0_sel:WORD_1 src1_sel:DWORD
	v_mul_f16_sdwa v59, v35, v20 dst_sel:DWORD dst_unused:UNUSED_PAD src0_sel:WORD_1 src1_sel:DWORD
	;; [unrolled: 1-line block ×16, first 2 shown]
	v_mul_f16_sdwa v74, v45, v43 dst_sel:DWORD dst_unused:UNUSED_PAD src0_sel:DWORD src1_sel:WORD_1
	v_mul_f16_sdwa v75, v32, v43 dst_sel:DWORD dst_unused:UNUSED_PAD src0_sel:DWORD src1_sel:WORD_1
	v_fmac_f16_e32 v58, v35, v20
	v_fma_f16 v20, v35, v53, -v59
	v_fmac_f16_e32 v60, v36, v21
	v_fma_f16 v21, v36, v52, -v61
	;; [unrolled: 2-line block ×9, first 2 shown]
	v_sub_f16_e32 v39, v60, v64
	v_sub_f16_e32 v40, v72, v68
	;; [unrolled: 1-line block ×6, first 2 shown]
	v_add_f16_e32 v73, v20, v18
	v_add_f16_e32 v75, v16, v14
	;; [unrolled: 1-line block ×8, first 2 shown]
	v_sub_f16_e32 v47, v60, v72
	v_add_f16_e32 v51, v21, v15
	v_add_f16_e32 v53, v58, v62
	;; [unrolled: 1-line block ×3, first 2 shown]
	v_sub_f16_e32 v60, v18, v32
	v_sub_f16_e32 v61, v16, v14
	;; [unrolled: 1-line block ×3, first 2 shown]
	v_add_f16_e32 v67, v62, v74
	v_sub_f16_e32 v69, v66, v62
	v_sub_f16_e32 v62, v62, v74
	;; [unrolled: 1-line block ×4, first 2 shown]
	v_add_f16_e32 v39, v39, v40
	v_add_f16_e32 v40, v42, v43
	;; [unrolled: 1-line block ×4, first 2 shown]
	v_fma_f16 v50, -0.5, v75, v20
	v_sub_f16_e32 v65, v74, v70
	v_sub_f16_e32 v76, v66, v70
	v_fmac_f16_e32 v20, -0.5, v79
	v_sub_f16_e32 v37, v21, v15
	v_sub_f16_e32 v38, v19, v17
	;; [unrolled: 1-line block ×6, first 2 shown]
	v_fma_f16 v36, -0.5, v36, v27
	v_fmac_f16_e32 v27, -0.5, v41
	v_add_f16_e32 v19, v45, v19
	v_fma_f16 v41, -0.5, v46, v44
	v_fmac_f16_e32 v44, -0.5, v51
	v_fma_f16 v45, -0.5, v59, v58
	v_add_f16_e32 v14, v16, v14
	v_fmamk_f16 v16, v62, 0x3b9c, v50
	v_add_f16_e32 v35, v35, v64
	v_add_f16_e32 v43, v53, v66
	;; [unrolled: 1-line block ×3, first 2 shown]
	v_fmac_f16_e32 v58, -0.5, v67
	v_fmamk_f16 v65, v76, 0xbb9c, v20
	v_fmac_f16_e32 v20, 0x3b9c, v76
	v_sub_f16_e32 v52, v17, v15
	v_fmac_f16_e32 v50, 0xbb9c, v62
	v_add_f16_e32 v51, v77, v78
	v_add_f16_e32 v17, v19, v17
	v_fmamk_f16 v59, v48, 0xbb9c, v44
	v_fmac_f16_e32 v44, 0x3b9c, v48
	v_fmamk_f16 v63, v60, 0xbb9c, v45
	v_fmac_f16_e32 v16, 0x38b4, v76
	v_sub_f16_e32 v71, v70, v74
	v_add_f16_e32 v18, v18, v80
	v_add_f16_e32 v35, v35, v68
	;; [unrolled: 1-line block ×3, first 2 shown]
	v_fmamk_f16 v64, v61, 0x3b9c, v58
	v_fmac_f16_e32 v58, 0xbb9c, v61
	v_fmac_f16_e32 v65, 0x38b4, v62
	;; [unrolled: 1-line block ×3, first 2 shown]
	v_add_f16_e32 v21, v21, v52
	v_fmamk_f16 v52, v37, 0xbb9c, v36
	v_fmac_f16_e32 v36, 0x3b9c, v37
	v_fmac_f16_e32 v45, 0x3b9c, v60
	v_fmac_f16_e32 v50, 0xb8b4, v76
	v_fmamk_f16 v19, v47, 0x3b9c, v41
	v_add_f16_e32 v15, v17, v15
	v_fmac_f16_e32 v59, 0x38b4, v47
	v_fmac_f16_e32 v44, 0xb8b4, v47
	;; [unrolled: 1-line block ×3, first 2 shown]
	v_add_f16_e32 v14, v14, v32
	v_fmac_f16_e32 v16, 0x34f2, v51
	v_add_f16_e32 v49, v69, v71
	v_fmamk_f16 v53, v38, 0x3b9c, v27
	v_fmac_f16_e32 v27, 0xbb9c, v38
	v_add_f16_e32 v35, v35, v72
	v_add_f16_e32 v17, v43, v74
	v_fmac_f16_e32 v64, 0xb8b4, v60
	v_fmac_f16_e32 v58, 0x38b4, v60
	;; [unrolled: 1-line block ×13, first 2 shown]
	v_add_f16_e32 v21, v15, v14
	v_sub_f16_e32 v14, v15, v14
	v_mul_f16_e32 v15, 0xb8b4, v16
	v_mul_f16_e32 v16, 0x3a79, v16
	v_fmac_f16_e32 v53, 0xb8b4, v37
	v_fmac_f16_e32 v27, 0x38b4, v37
	;; [unrolled: 1-line block ×4, first 2 shown]
	v_add_f16_e32 v18, v35, v17
	v_sub_f16_e32 v17, v35, v17
	v_mul_f16_e32 v32, 0xbb9c, v65
	v_mul_f16_e32 v35, 0xbb9c, v20
	;; [unrolled: 1-line block ×4, first 2 shown]
	v_fmac_f16_e32 v41, 0xb8b4, v48
	v_fmac_f16_e32 v52, 0x34f2, v39
	;; [unrolled: 1-line block ×4, first 2 shown]
	v_mul_f16_e32 v37, 0xb8b4, v50
	v_mul_f16_e32 v39, 0xba79, v50
	v_fmac_f16_e32 v19, 0x34f2, v42
	v_fmac_f16_e32 v15, 0x3a79, v63
	v_fmac_f16_e32 v16, 0x38b4, v63
	v_fmac_f16_e32 v53, 0x34f2, v40
	v_fmac_f16_e32 v27, 0x34f2, v40
	v_fmac_f16_e32 v32, 0x34f2, v64
	v_fmac_f16_e32 v35, 0xb4f2, v58
	v_fmac_f16_e32 v38, 0x3b9c, v64
	v_fmac_f16_e32 v20, 0x3b9c, v58
	v_fmac_f16_e32 v41, 0x34f2, v42
	v_fmac_f16_e32 v37, 0xba79, v45
	v_fmac_f16_e32 v39, 0x38b4, v45
	v_pack_b32_f16 v14, v17, v14
	v_add_f16_e32 v17, v52, v15
	v_add_f16_e32 v43, v19, v16
	v_pack_b32_f16 v18, v18, v21
	v_add_f16_e32 v21, v53, v32
	v_add_f16_e32 v40, v27, v35
	;; [unrolled: 1-line block ×6, first 2 shown]
	v_sub_f16_e32 v15, v52, v15
	v_sub_f16_e32 v32, v53, v32
	;; [unrolled: 1-line block ×8, first 2 shown]
	v_pack_b32_f16 v17, v17, v43
	v_pack_b32_f16 v21, v21, v45
	;; [unrolled: 1-line block ×8, first 2 shown]
	ds_write2_b32 v1, v18, v17 offset1:160
	ds_write2_b32 v54, v21, v37 offset0:64 offset1:224
	ds_write2_b32 v55, v38, v14 offset1:160
	ds_write2_b32 v56, v15, v16 offset0:64 offset1:224
	ds_write2_b32 v57, v19, v20 offset1:160
	s_and_saveexec_b32 s1, s0
	s_cbranch_execz .LBB0_23
; %bb.22:
	v_add_nc_u32_e32 v14, 0x64, v0
	v_subrev_nc_u32_e32 v15, 60, v0
	v_add_nc_u32_e32 v32, 0x100, v1
	v_add_nc_u32_e32 v37, 0x1000, v1
	v_cndmask_b32_e64 v14, v15, v14, s0
	v_mov_b32_e32 v15, 0
	v_mul_i32_i24_e32 v14, 9, v14
	v_lshlrev_b64 v[14:15], 2, v[14:15]
	v_add_co_u32 v35, s0, s8, v14
	v_add_co_ci_u32_e64 v36, s0, s9, v15, s0
	s_clause 0x2
	global_load_dwordx4 v[14:17], v[35:36], off offset:600
	global_load_dwordx4 v[18:21], v[35:36], off offset:616
	global_load_dword v27, v[35:36], off offset:632
	v_add_nc_u32_e32 v35, 0x600, v1
	v_add_nc_u32_e32 v36, 0xb00, v1
	;; [unrolled: 1-line block ×3, first 2 shown]
	s_waitcnt vmcnt(2)
	v_mul_f16_sdwa v38, v10, v15 dst_sel:DWORD dst_unused:UNUSED_PAD src0_sel:DWORD src1_sel:WORD_1
	v_mul_f16_sdwa v39, v12, v17 dst_sel:DWORD dst_unused:UNUSED_PAD src0_sel:DWORD src1_sel:WORD_1
	s_waitcnt vmcnt(1)
	v_mul_f16_sdwa v40, v6, v21 dst_sel:DWORD dst_unused:UNUSED_PAD src0_sel:DWORD src1_sel:WORD_1
	v_mul_f16_sdwa v41, v4, v19 dst_sel:DWORD dst_unused:UNUSED_PAD src0_sel:DWORD src1_sel:WORD_1
	;; [unrolled: 1-line block ×5, first 2 shown]
	s_waitcnt vmcnt(0)
	v_mul_f16_sdwa v48, v29, v27 dst_sel:DWORD dst_unused:UNUSED_PAD src0_sel:DWORD src1_sel:WORD_1
	v_mul_f16_sdwa v49, v23, v20 dst_sel:DWORD dst_unused:UNUSED_PAD src0_sel:DWORD src1_sel:WORD_1
	v_mul_f16_sdwa v53, v13, v18 dst_sel:DWORD dst_unused:UNUSED_PAD src0_sel:DWORD src1_sel:WORD_1
	v_mul_f16_sdwa v54, v5, v20 dst_sel:DWORD dst_unused:UNUSED_PAD src0_sel:DWORD src1_sel:WORD_1
	v_mul_f16_sdwa v45, v25, v19 dst_sel:DWORD dst_unused:UNUSED_PAD src0_sel:DWORD src1_sel:WORD_1
	v_mul_f16_sdwa v51, v11, v16 dst_sel:DWORD dst_unused:UNUSED_PAD src0_sel:DWORD src1_sel:WORD_1
	v_mul_f16_sdwa v52, v7, v27 dst_sel:DWORD dst_unused:UNUSED_PAD src0_sel:DWORD src1_sel:WORD_1
	v_mul_f16_sdwa v42, v34, v15 dst_sel:DWORD dst_unused:UNUSED_PAD src0_sel:DWORD src1_sel:WORD_1
	v_mul_f16_sdwa v44, v31, v17 dst_sel:DWORD dst_unused:UNUSED_PAD src0_sel:DWORD src1_sel:WORD_1
	v_mul_f16_sdwa v50, v28, v14 dst_sel:DWORD dst_unused:UNUSED_PAD src0_sel:DWORD src1_sel:WORD_1
	v_mul_f16_sdwa v55, v9, v14 dst_sel:DWORD dst_unused:UNUSED_PAD src0_sel:DWORD src1_sel:WORD_1
	v_fma_f16 v34, v34, v15, -v38
	v_fma_f16 v31, v31, v17, -v39
	;; [unrolled: 1-line block ×4, first 2 shown]
	v_fmac_f16_e32 v43, v6, v21
	v_fmac_f16_e32 v46, v11, v16
	;; [unrolled: 1-line block ×5, first 2 shown]
	v_fma_f16 v6, v24, v18, -v53
	v_fma_f16 v7, v23, v20, -v54
	v_fmac_f16_e32 v45, v4, v19
	v_fma_f16 v4, v33, v16, -v51
	v_fma_f16 v5, v29, v27, -v52
	v_fmac_f16_e32 v42, v10, v15
	v_fmac_f16_e32 v44, v12, v17
	;; [unrolled: 1-line block ×3, first 2 shown]
	v_fma_f16 v9, v28, v14, -v55
	v_sub_f16_e32 v10, v34, v31
	v_sub_f16_e32 v11, v30, v25
	v_add_f16_e32 v12, v31, v25
	v_sub_f16_e32 v15, v46, v47
	v_sub_f16_e32 v16, v48, v49
	v_add_f16_e32 v17, v47, v49
	v_add_f16_e32 v23, v6, v7
	;; [unrolled: 1-line block ×3, first 2 shown]
	v_sub_f16_e32 v13, v42, v43
	v_sub_f16_e32 v20, v4, v6
	v_sub_f16_e32 v21, v5, v7
	v_sub_f16_e32 v24, v46, v48
	v_add_f16_e32 v33, v34, v30
	v_sub_f16_e32 v38, v47, v46
	v_sub_f16_e32 v39, v49, v48
	;; [unrolled: 1-line block ×4, first 2 shown]
	v_add_f16_e32 v60, v42, v43
	v_add_f16_e32 v42, v8, v42
	;; [unrolled: 1-line block ×3, first 2 shown]
	v_fma_f16 v11, -0.5, v12, v22
	v_add_f16_e32 v12, v15, v16
	v_fma_f16 v15, -0.5, v17, v50
	v_fma_f16 v17, -0.5, v23, v9
	v_sub_f16_e32 v18, v4, v5
	v_sub_f16_e32 v27, v47, v49
	;; [unrolled: 1-line block ×4, first 2 shown]
	v_add_f16_e32 v40, v46, v48
	v_sub_f16_e32 v41, v6, v4
	v_add_f16_e32 v53, v22, v34
	v_add_f16_e32 v4, v9, v4
	;; [unrolled: 1-line block ×4, first 2 shown]
	v_fma_f16 v9, -0.5, v52, v9
	v_sub_f16_e32 v51, v7, v5
	v_add_f16_e32 v16, v20, v21
	v_fma_f16 v21, -0.5, v33, v22
	v_add_f16_e32 v22, v38, v39
	v_add_f16_e32 v38, v42, v44
	v_fmamk_f16 v42, v24, 0xbb9c, v17
	v_fmac_f16_e32 v17, 0x3b9c, v24
	v_sub_f16_e32 v14, v44, v45
	v_sub_f16_e32 v19, v6, v7
	;; [unrolled: 1-line block ×4, first 2 shown]
	v_add_f16_e32 v20, v28, v29
	v_fma_f16 v23, -0.5, v40, v50
	v_add_f16_e32 v29, v53, v31
	v_add_f16_e32 v4, v4, v6
	v_fma_f16 v31, -0.5, v56, v8
	v_add_f16_e32 v39, v46, v47
	v_fmamk_f16 v47, v27, 0x3b9c, v9
	v_fmac_f16_e32 v9, 0xbb9c, v27
	v_add_f16_e32 v28, v41, v51
	v_fmamk_f16 v41, v18, 0x3b9c, v15
	v_fmac_f16_e32 v15, 0xbb9c, v18
	v_fmac_f16_e32 v17, 0x38b4, v27
	v_sub_f16_e32 v55, v43, v45
	v_fma_f16 v8, -0.5, v60, v8
	v_fmamk_f16 v40, v13, 0xbb9c, v11
	v_fmamk_f16 v44, v14, 0x3b9c, v21
	;; [unrolled: 1-line block ×3, first 2 shown]
	v_fmac_f16_e32 v21, 0xbb9c, v14
	v_fmac_f16_e32 v23, 0x3b9c, v19
	v_fmac_f16_e32 v11, 0x3b9c, v13
	v_add_f16_e32 v25, v29, v25
	v_add_f16_e32 v4, v4, v7
	v_fmamk_f16 v7, v34, 0x3b9c, v31
	v_fmac_f16_e32 v31, 0xbb9c, v34
	v_add_f16_e32 v38, v38, v45
	v_add_f16_e32 v39, v39, v49
	v_fmac_f16_e32 v47, 0xb8b4, v24
	v_fmac_f16_e32 v9, 0x38b4, v24
	;; [unrolled: 1-line block ×5, first 2 shown]
	v_sub_f16_e32 v59, v45, v43
	v_add_f16_e32 v6, v54, v55
	v_fmamk_f16 v29, v57, 0xbb9c, v8
	v_fmac_f16_e32 v8, 0x3b9c, v57
	v_fmac_f16_e32 v40, 0xb8b4, v14
	;; [unrolled: 1-line block ×7, first 2 shown]
	v_add_f16_e32 v13, v25, v30
	v_add_f16_e32 v4, v4, v5
	v_fmac_f16_e32 v7, 0x38b4, v57
	v_fmac_f16_e32 v31, 0xb8b4, v57
	v_add_f16_e32 v5, v38, v43
	v_add_f16_e32 v14, v39, v48
	v_fmac_f16_e32 v47, 0x34f2, v28
	v_fmac_f16_e32 v9, 0x34f2, v28
	;; [unrolled: 1-line block ×5, first 2 shown]
	v_mul_f16_e32 v16, 0x3a79, v17
	v_mul_f16_e32 v17, 0xb8b4, v17
	v_add_f16_e32 v33, v58, v59
	v_fmac_f16_e32 v29, 0x38b4, v34
	v_fmac_f16_e32 v8, 0xb8b4, v34
	;; [unrolled: 1-line block ×6, first 2 shown]
	v_sub_f16_e32 v10, v13, v4
	v_fmac_f16_e32 v7, 0x34f2, v6
	v_fmac_f16_e32 v31, 0x34f2, v6
	v_sub_f16_e32 v6, v5, v14
	v_add_f16_e32 v4, v13, v4
	v_add_f16_e32 v5, v5, v14
	v_mul_f16_e32 v13, 0xb4f2, v47
	v_mul_f16_e32 v14, 0x34f2, v9
	;; [unrolled: 1-line block ×4, first 2 shown]
	v_fmac_f16_e32 v41, 0x34f2, v12
	v_mul_f16_e32 v12, 0xba79, v42
	v_mul_f16_e32 v18, 0xb8b4, v42
	v_fmac_f16_e32 v16, 0x38b4, v15
	v_fmac_f16_e32 v17, 0x3a79, v15
	;; [unrolled: 1-line block ×12, first 2 shown]
	v_sub_f16_e32 v20, v11, v16
	v_add_f16_e32 v11, v11, v16
	v_add_f16_e32 v16, v31, v17
	v_pack_b32_f16 v4, v5, v4
	v_pack_b32_f16 v5, v6, v10
	v_sub_f16_e32 v10, v44, v13
	v_sub_f16_e32 v15, v21, v14
	;; [unrolled: 1-line block ×3, first 2 shown]
	v_add_f16_e32 v13, v44, v13
	v_add_f16_e32 v14, v21, v14
	;; [unrolled: 1-line block ×4, first 2 shown]
	v_sub_f16_e32 v6, v40, v12
	v_sub_f16_e32 v22, v7, v18
	v_add_f16_e32 v12, v40, v12
	v_add_f16_e32 v7, v7, v18
	v_sub_f16_e32 v17, v31, v17
	v_sub_f16_e32 v23, v29, v19
	v_pack_b32_f16 v11, v16, v11
	v_pack_b32_f16 v8, v8, v14
	;; [unrolled: 1-line block ×8, first 2 shown]
	ds_write2_b32 v32, v4, v11 offset0:36 offset1:196
	ds_write2_b32 v35, v8, v9 offset0:36 offset1:196
	;; [unrolled: 1-line block ×5, first 2 shown]
.LBB0_23:
	s_or_b32 exec_lo, exec_lo, s1
	s_waitcnt lgkmcnt(0)
	s_barrier
	buffer_gl0_inv
	s_and_saveexec_b32 s0, vcc_lo
	s_cbranch_execz .LBB0_25
; %bb.24:
	v_lshl_add_u32 v18, v0, 2, v26
	v_mov_b32_e32 v1, 0
	v_add_nc_u32_e32 v4, 0x64, v0
	v_add_co_u32 v19, vcc_lo, s2, v2
	v_add_nc_u32_e32 v9, 0x200, v18
	ds_read2_b32 v[6:7], v18 offset1:100
	v_mov_b32_e32 v5, v1
	v_add_co_ci_u32_e32 v20, vcc_lo, s3, v3, vcc_lo
	ds_read2_b32 v[10:11], v9 offset0:72 offset1:172
	v_lshlrev_b64 v[2:3], 2, v[0:1]
	v_add_nc_u32_e32 v8, 0xc8, v0
	v_mov_b32_e32 v9, v1
	v_lshlrev_b64 v[4:5], 2, v[4:5]
	v_add_nc_u32_e32 v12, 0x12c, v0
	v_mov_b32_e32 v13, v1
	v_add_co_u32 v2, vcc_lo, v19, v2
	v_lshlrev_b64 v[8:9], 2, v[8:9]
	v_add_co_ci_u32_e32 v3, vcc_lo, v20, v3, vcc_lo
	v_add_co_u32 v4, vcc_lo, v19, v4
	v_add_co_ci_u32_e32 v5, vcc_lo, v20, v5, vcc_lo
	v_add_co_u32 v8, vcc_lo, v19, v8
	v_add_co_ci_u32_e32 v9, vcc_lo, v20, v9, vcc_lo
	s_waitcnt lgkmcnt(1)
	global_store_dword v[2:3], v6, off
	global_store_dword v[4:5], v7, off
	s_waitcnt lgkmcnt(0)
	global_store_dword v[8:9], v10, off
	v_add_nc_u32_e32 v8, 0x400, v18
	v_add_nc_u32_e32 v10, 0x800, v18
	;; [unrolled: 1-line block ×3, first 2 shown]
	v_mov_b32_e32 v5, v1
	v_lshlrev_b64 v[2:3], 2, v[12:13]
	ds_read2_b32 v[8:9], v8 offset0:144 offset1:244
	v_add_nc_u32_e32 v6, 0x1f4, v0
	v_mov_b32_e32 v7, v1
	ds_read2_b32 v[14:15], v10 offset0:88 offset1:188
	v_lshlrev_b64 v[4:5], 2, v[4:5]
	v_add_nc_u32_e32 v12, 0x258, v0
	v_add_co_u32 v2, vcc_lo, v19, v2
	v_lshlrev_b64 v[6:7], 2, v[6:7]
	v_add_co_ci_u32_e32 v3, vcc_lo, v20, v3, vcc_lo
	v_add_co_u32 v4, vcc_lo, v19, v4
	v_lshlrev_b64 v[12:13], 2, v[12:13]
	v_add_co_ci_u32_e32 v5, vcc_lo, v20, v5, vcc_lo
	v_add_co_u32 v6, vcc_lo, v19, v6
	v_add_co_ci_u32_e32 v7, vcc_lo, v20, v7, vcc_lo
	v_add_co_u32 v12, vcc_lo, v19, v12
	v_add_co_ci_u32_e32 v13, vcc_lo, v20, v13, vcc_lo
	v_add_nc_u32_e32 v16, 0x2bc, v0
	v_mov_b32_e32 v17, v1
	global_store_dword v[2:3], v11, off
	s_waitcnt lgkmcnt(1)
	global_store_dword v[4:5], v8, off
	global_store_dword v[6:7], v9, off
	s_waitcnt lgkmcnt(0)
	global_store_dword v[12:13], v14, off
	v_add_nc_u32_e32 v8, 0xc00, v18
	v_add_nc_u32_e32 v11, 0xe00, v18
	;; [unrolled: 1-line block ×3, first 2 shown]
	v_mov_b32_e32 v5, v1
	v_lshlrev_b64 v[2:3], 2, v[16:17]
	ds_read2_b32 v[8:9], v8 offset0:32 offset1:132
	v_add_nc_u32_e32 v6, 0x384, v0
	v_mov_b32_e32 v7, v1
	ds_read2_b32 v[12:13], v11 offset0:104 offset1:204
	v_lshlrev_b64 v[4:5], 2, v[4:5]
	v_add_nc_u32_e32 v10, 0x3e8, v0
	v_mov_b32_e32 v11, v1
	v_add_co_u32 v2, vcc_lo, v19, v2
	v_lshlrev_b64 v[6:7], 2, v[6:7]
	v_add_co_ci_u32_e32 v3, vcc_lo, v20, v3, vcc_lo
	v_add_co_u32 v4, vcc_lo, v19, v4
	v_lshlrev_b64 v[10:11], 2, v[10:11]
	v_add_co_ci_u32_e32 v5, vcc_lo, v20, v5, vcc_lo
	v_add_co_u32 v6, vcc_lo, v19, v6
	v_add_co_ci_u32_e32 v7, vcc_lo, v20, v7, vcc_lo
	v_add_co_u32 v10, vcc_lo, v19, v10
	v_add_co_ci_u32_e32 v11, vcc_lo, v20, v11, vcc_lo
	v_add_nc_u32_e32 v16, 0x44c, v0
	global_store_dword v[2:3], v15, off
	s_waitcnt lgkmcnt(1)
	global_store_dword v[4:5], v8, off
	global_store_dword v[6:7], v9, off
	s_waitcnt lgkmcnt(0)
	global_store_dword v[10:11], v12, off
	v_add_nc_u32_e32 v8, 0x1200, v18
	v_add_nc_u32_e32 v4, 0x4b0, v0
	v_mov_b32_e32 v5, v1
	v_add_nc_u32_e32 v12, 0x1400, v18
	v_lshlrev_b64 v[2:3], 2, v[16:17]
	v_add_nc_u32_e32 v6, 0x514, v0
	v_mov_b32_e32 v7, v1
	ds_read2_b32 v[8:9], v8 offset0:48 offset1:148
	v_lshlrev_b64 v[4:5], 2, v[4:5]
	v_add_nc_u32_e32 v10, 0x578, v0
	v_mov_b32_e32 v11, v1
	ds_read2_b32 v[14:15], v12 offset0:120 offset1:220
	v_add_co_u32 v2, vcc_lo, v19, v2
	v_lshlrev_b64 v[6:7], 2, v[6:7]
	v_add_nc_u32_e32 v0, 0x5dc, v0
	v_add_co_ci_u32_e32 v3, vcc_lo, v20, v3, vcc_lo
	v_add_co_u32 v4, vcc_lo, v19, v4
	v_lshlrev_b64 v[10:11], 2, v[10:11]
	v_add_co_ci_u32_e32 v5, vcc_lo, v20, v5, vcc_lo
	v_add_co_u32 v6, vcc_lo, v19, v6
	v_lshlrev_b64 v[0:1], 2, v[0:1]
	v_add_co_ci_u32_e32 v7, vcc_lo, v20, v7, vcc_lo
	v_add_co_u32 v10, vcc_lo, v19, v10
	v_add_co_ci_u32_e32 v11, vcc_lo, v20, v11, vcc_lo
	v_add_co_u32 v0, vcc_lo, v19, v0
	v_add_co_ci_u32_e32 v1, vcc_lo, v20, v1, vcc_lo
	global_store_dword v[2:3], v13, off
	s_waitcnt lgkmcnt(1)
	global_store_dword v[4:5], v8, off
	global_store_dword v[6:7], v9, off
	s_waitcnt lgkmcnt(0)
	global_store_dword v[10:11], v14, off
	global_store_dword v[0:1], v15, off
.LBB0_25:
	s_endpgm
	.section	.rodata,"a",@progbits
	.p2align	6, 0x0
	.amdhsa_kernel fft_rtc_back_len1600_factors_10_16_10_wgs_200_tpt_100_halfLds_half_ip_CI_unitstride_sbrr_C2R_dirReg
		.amdhsa_group_segment_fixed_size 0
		.amdhsa_private_segment_fixed_size 0
		.amdhsa_kernarg_size 88
		.amdhsa_user_sgpr_count 6
		.amdhsa_user_sgpr_private_segment_buffer 1
		.amdhsa_user_sgpr_dispatch_ptr 0
		.amdhsa_user_sgpr_queue_ptr 0
		.amdhsa_user_sgpr_kernarg_segment_ptr 1
		.amdhsa_user_sgpr_dispatch_id 0
		.amdhsa_user_sgpr_flat_scratch_init 0
		.amdhsa_user_sgpr_private_segment_size 0
		.amdhsa_wavefront_size32 1
		.amdhsa_uses_dynamic_stack 0
		.amdhsa_system_sgpr_private_segment_wavefront_offset 0
		.amdhsa_system_sgpr_workgroup_id_x 1
		.amdhsa_system_sgpr_workgroup_id_y 0
		.amdhsa_system_sgpr_workgroup_id_z 0
		.amdhsa_system_sgpr_workgroup_info 0
		.amdhsa_system_vgpr_workitem_id 0
		.amdhsa_next_free_vgpr 97
		.amdhsa_next_free_sgpr 21
		.amdhsa_reserve_vcc 1
		.amdhsa_reserve_flat_scratch 0
		.amdhsa_float_round_mode_32 0
		.amdhsa_float_round_mode_16_64 0
		.amdhsa_float_denorm_mode_32 3
		.amdhsa_float_denorm_mode_16_64 3
		.amdhsa_dx10_clamp 1
		.amdhsa_ieee_mode 1
		.amdhsa_fp16_overflow 0
		.amdhsa_workgroup_processor_mode 1
		.amdhsa_memory_ordered 1
		.amdhsa_forward_progress 0
		.amdhsa_shared_vgpr_count 0
		.amdhsa_exception_fp_ieee_invalid_op 0
		.amdhsa_exception_fp_denorm_src 0
		.amdhsa_exception_fp_ieee_div_zero 0
		.amdhsa_exception_fp_ieee_overflow 0
		.amdhsa_exception_fp_ieee_underflow 0
		.amdhsa_exception_fp_ieee_inexact 0
		.amdhsa_exception_int_div_zero 0
	.end_amdhsa_kernel
	.text
.Lfunc_end0:
	.size	fft_rtc_back_len1600_factors_10_16_10_wgs_200_tpt_100_halfLds_half_ip_CI_unitstride_sbrr_C2R_dirReg, .Lfunc_end0-fft_rtc_back_len1600_factors_10_16_10_wgs_200_tpt_100_halfLds_half_ip_CI_unitstride_sbrr_C2R_dirReg
                                        ; -- End function
	.section	.AMDGPU.csdata,"",@progbits
; Kernel info:
; codeLenInByte = 11144
; NumSgprs: 23
; NumVgprs: 97
; ScratchSize: 0
; MemoryBound: 0
; FloatMode: 240
; IeeeMode: 1
; LDSByteSize: 0 bytes/workgroup (compile time only)
; SGPRBlocks: 2
; VGPRBlocks: 12
; NumSGPRsForWavesPerEU: 23
; NumVGPRsForWavesPerEU: 97
; Occupancy: 9
; WaveLimiterHint : 1
; COMPUTE_PGM_RSRC2:SCRATCH_EN: 0
; COMPUTE_PGM_RSRC2:USER_SGPR: 6
; COMPUTE_PGM_RSRC2:TRAP_HANDLER: 0
; COMPUTE_PGM_RSRC2:TGID_X_EN: 1
; COMPUTE_PGM_RSRC2:TGID_Y_EN: 0
; COMPUTE_PGM_RSRC2:TGID_Z_EN: 0
; COMPUTE_PGM_RSRC2:TIDIG_COMP_CNT: 0
	.text
	.p2alignl 6, 3214868480
	.fill 48, 4, 3214868480
	.type	__hip_cuid_7d983d4a94effcaa,@object ; @__hip_cuid_7d983d4a94effcaa
	.section	.bss,"aw",@nobits
	.globl	__hip_cuid_7d983d4a94effcaa
__hip_cuid_7d983d4a94effcaa:
	.byte	0                               ; 0x0
	.size	__hip_cuid_7d983d4a94effcaa, 1

	.ident	"AMD clang version 19.0.0git (https://github.com/RadeonOpenCompute/llvm-project roc-6.4.0 25133 c7fe45cf4b819c5991fe208aaa96edf142730f1d)"
	.section	".note.GNU-stack","",@progbits
	.addrsig
	.addrsig_sym __hip_cuid_7d983d4a94effcaa
	.amdgpu_metadata
---
amdhsa.kernels:
  - .args:
      - .actual_access:  read_only
        .address_space:  global
        .offset:         0
        .size:           8
        .value_kind:     global_buffer
      - .offset:         8
        .size:           8
        .value_kind:     by_value
      - .actual_access:  read_only
        .address_space:  global
        .offset:         16
        .size:           8
        .value_kind:     global_buffer
      - .actual_access:  read_only
        .address_space:  global
        .offset:         24
        .size:           8
        .value_kind:     global_buffer
      - .offset:         32
        .size:           8
        .value_kind:     by_value
      - .actual_access:  read_only
        .address_space:  global
        .offset:         40
        .size:           8
        .value_kind:     global_buffer
      - .actual_access:  read_only
        .address_space:  global
        .offset:         48
        .size:           8
        .value_kind:     global_buffer
      - .offset:         56
        .size:           4
        .value_kind:     by_value
      - .actual_access:  read_only
        .address_space:  global
        .offset:         64
        .size:           8
        .value_kind:     global_buffer
      - .actual_access:  read_only
        .address_space:  global
        .offset:         72
        .size:           8
        .value_kind:     global_buffer
      - .address_space:  global
        .offset:         80
        .size:           8
        .value_kind:     global_buffer
    .group_segment_fixed_size: 0
    .kernarg_segment_align: 8
    .kernarg_segment_size: 88
    .language:       OpenCL C
    .language_version:
      - 2
      - 0
    .max_flat_workgroup_size: 200
    .name:           fft_rtc_back_len1600_factors_10_16_10_wgs_200_tpt_100_halfLds_half_ip_CI_unitstride_sbrr_C2R_dirReg
    .private_segment_fixed_size: 0
    .sgpr_count:     23
    .sgpr_spill_count: 0
    .symbol:         fft_rtc_back_len1600_factors_10_16_10_wgs_200_tpt_100_halfLds_half_ip_CI_unitstride_sbrr_C2R_dirReg.kd
    .uniform_work_group_size: 1
    .uses_dynamic_stack: false
    .vgpr_count:     97
    .vgpr_spill_count: 0
    .wavefront_size: 32
    .workgroup_processor_mode: 1
amdhsa.target:   amdgcn-amd-amdhsa--gfx1030
amdhsa.version:
  - 1
  - 2
...

	.end_amdgpu_metadata
